;; amdgpu-corpus repo=zjin-lcf/HeCBench kind=compiled arch=gfx90a opt=O3
	.text
	.amdgcn_target "amdgcn-amd-amdhsa--gfx90a"
	.amdhsa_code_object_version 6
	.section	.text._Z45unrolled_elementwise_kernel_for_multi_outputsILi2EZ4mainEUlffffE_5ArrayIPcLi6EE23TrivialOffsetCalculatorILi4EjES4_ILi2EjEEviT0_T1_T2_T3_,"axG",@progbits,_Z45unrolled_elementwise_kernel_for_multi_outputsILi2EZ4mainEUlffffE_5ArrayIPcLi6EE23TrivialOffsetCalculatorILi4EjES4_ILi2EjEEviT0_T1_T2_T3_,comdat
	.globl	_Z45unrolled_elementwise_kernel_for_multi_outputsILi2EZ4mainEUlffffE_5ArrayIPcLi6EE23TrivialOffsetCalculatorILi4EjES4_ILi2EjEEviT0_T1_T2_T3_ ; -- Begin function _Z45unrolled_elementwise_kernel_for_multi_outputsILi2EZ4mainEUlffffE_5ArrayIPcLi6EE23TrivialOffsetCalculatorILi4EjES4_ILi2EjEEviT0_T1_T2_T3_
	.p2align	8
	.type	_Z45unrolled_elementwise_kernel_for_multi_outputsILi2EZ4mainEUlffffE_5ArrayIPcLi6EE23TrivialOffsetCalculatorILi4EjES4_ILi2EjEEviT0_T1_T2_T3_,@function
_Z45unrolled_elementwise_kernel_for_multi_outputsILi2EZ4mainEUlffffE_5ArrayIPcLi6EE23TrivialOffsetCalculatorILi4EjES4_ILi2EjEEviT0_T1_T2_T3_: ; @_Z45unrolled_elementwise_kernel_for_multi_outputsILi2EZ4mainEUlffffE_5ArrayIPcLi6EE23TrivialOffsetCalculatorILi4EjES4_ILi2EjEEviT0_T1_T2_T3_
; %bb.0:
	s_load_dwordx2 s[4:5], s[4:5], 0x4
	s_add_u32 s0, s0, s11
	s_addc_u32 s1, s1, 0
	v_and_b32_e32 v2, 0x3ff, v0
	s_load_dwordx8 s[12:19], s[6:7], 0x8
	s_load_dwordx4 s[20:23], s[6:7], 0x28
	s_waitcnt lgkmcnt(0)
	s_lshr_b32 s4, s4, 16
	s_mul_i32 s4, s4, s5
	v_mul_lo_u32 v1, s4, v2
	s_load_dword s4, s[6:7], 0x0
	s_mov_b32 s8, 0
	v_bfe_u32 v3, v0, 10, 10
	s_lshl_b32 s24, s10, 9
	s_mov_b32 s9, s8
	v_mad_u32_u24 v1, v3, s5, v1
	v_bfe_u32 v0, v0, 20, 10
	s_waitcnt lgkmcnt(0)
	s_sub_i32 s25, s4, s24
	s_mov_b32 s10, s8
	s_mov_b32 s11, s8
	v_pk_mov_b32 v[4:5], s[8:9], s[8:9] op_sel:[0,1]
	v_add_lshl_u32 v3, v1, v0, 5
	v_pk_mov_b32 v[6:7], s[10:11], s[10:11] op_sel:[0,1]
	v_mov_b32_e32 v1, 0
	v_cmp_gt_i32_e32 vcc, s25, v2
	ds_write_b128 v3, v[4:7]
	ds_write_b128 v3, v[4:7] offset:16
	buffer_store_dword v1, off, s[0:3], 0 offset:4
	buffer_store_dword v1, off, s[0:3], 0
	buffer_store_dword v1, off, s[0:3], 0 offset:12
	buffer_store_dword v1, off, s[0:3], 0 offset:8
	buffer_store_dword v1, off, s[0:3], 0 offset:20
	buffer_store_dword v1, off, s[0:3], 0 offset:16
	buffer_store_dword v1, off, s[0:3], 0 offset:28
	buffer_store_dword v1, off, s[0:3], 0 offset:24
	buffer_store_dword v1, off, s[0:3], 0 offset:36
	buffer_store_dword v1, off, s[0:3], 0 offset:32
	buffer_store_dword v1, off, s[0:3], 0 offset:44
	buffer_store_dword v1, off, s[0:3], 0 offset:40
	buffer_store_dword v1, off, s[0:3], 0 offset:52
	buffer_store_dword v1, off, s[0:3], 0 offset:48
	buffer_store_dword v1, off, s[0:3], 0 offset:60
	buffer_store_dword v1, off, s[0:3], 0 offset:56
	s_and_saveexec_b64 s[6:7], vcc
	s_cbranch_execz .LBB0_3
; %bb.1:
	v_mov_b32_e32 v4, 0
	s_mov_b64 s[10:11], 0
	v_mov_b32_e32 v5, s17
	v_mov_b32_e32 v6, s19
	;; [unrolled: 1-line block ×5, first 2 shown]
.LBB0_2:                                ; =>This Inner Loop Header: Depth=1
	v_add_u32_e32 v0, s24, v9
	v_lshlrev_b64 v[10:11], 2, v[0:1]
	v_add_co_u32_e64 v12, s[4:5], s16, v10
	v_addc_co_u32_e64 v13, s[4:5], v5, v11, s[4:5]
	v_add_co_u32_e64 v14, s[4:5], s18, v10
	v_addc_co_u32_e64 v15, s[4:5], v6, v11, s[4:5]
	;; [unrolled: 2-line block ×4, first 2 shown]
	global_load_dword v0, v[12:13], off
	global_load_dword v18, v[14:15], off
	;; [unrolled: 1-line block ×4, first 2 shown]
	s_add_i32 s9, s8, 1
	v_add_u32_e32 v9, 0x80, v9
	s_cmp_gt_u32 s8, 2
	v_cmp_le_i32_e64 s[4:5], s25, v9
	s_cselect_b64 s[26:27], -1, 0
	s_or_b64 s[4:5], s[26:27], s[4:5]
	s_and_b64 s[4:5], exec, s[4:5]
	s_mov_b32 s8, s9
	s_or_b64 s[10:11], s[4:5], s[10:11]
	s_waitcnt vmcnt(3)
	buffer_store_dword v0, v4, s[0:3], 0 offen offset:12
	s_waitcnt vmcnt(3)
	buffer_store_dword v18, v4, s[0:3], 0 offen offset:8
	s_waitcnt vmcnt(3)
	buffer_store_dword v19, v4, s[0:3], 0 offen offset:4
	s_waitcnt vmcnt(3)
	buffer_store_dword v20, v4, s[0:3], 0 offen
	v_add_u32_e32 v4, 16, v4
	s_andn2_b64 exec, exec, s[10:11]
	s_cbranch_execnz .LBB0_2
.LBB0_3:
	s_or_b64 exec, exec, s[6:7]
	v_cmp_gt_u32_e64 s[4:5], s25, v2
	s_and_saveexec_b64 s[6:7], s[4:5]
	s_cbranch_execz .LBB0_5
; %bb.4:
	buffer_load_dword v0, off, s[0:3], 0
	buffer_load_dword v4, off, s[0:3], 0 offset:8
	buffer_load_dword v5, off, s[0:3], 0 offset:12
	;; [unrolled: 1-line block ×3, first 2 shown]
	s_waitcnt vmcnt(2)
	v_mul_f32_e32 v7, v4, v0
	s_waitcnt vmcnt(1)
	v_mul_f32_e32 v1, v5, v0
	s_waitcnt vmcnt(0)
	v_fma_f32 v0, v5, v6, -v7
	v_fmac_f32_e32 v1, v4, v6
	ds_write_b64 v3, v[0:1]
.LBB0_5:
	s_or_b64 exec, exec, s[6:7]
	v_add_u32_e32 v0, 0x80, v2
	v_cmp_gt_u32_e64 s[4:5], s25, v0
	s_and_saveexec_b64 s[6:7], s[4:5]
	s_cbranch_execz .LBB0_7
; %bb.6:
	buffer_load_dword v0, off, s[0:3], 0 offset:16
	buffer_load_dword v4, off, s[0:3], 0 offset:24
	buffer_load_dword v5, off, s[0:3], 0 offset:28
	buffer_load_dword v6, off, s[0:3], 0 offset:20
	s_waitcnt vmcnt(2)
	v_mul_f32_e32 v7, v4, v0
	s_waitcnt vmcnt(1)
	v_mul_f32_e32 v1, v5, v0
	s_waitcnt vmcnt(0)
	v_fma_f32 v0, v5, v6, -v7
	v_fmac_f32_e32 v1, v4, v6
	ds_write_b64 v3, v[0:1] offset:8
.LBB0_7:
	s_or_b64 exec, exec, s[6:7]
	v_add_u32_e32 v0, 0x100, v2
	v_cmp_gt_u32_e64 s[4:5], s25, v0
	s_and_saveexec_b64 s[6:7], s[4:5]
	s_cbranch_execz .LBB0_9
; %bb.8:
	buffer_load_dword v0, off, s[0:3], 0 offset:32
	buffer_load_dword v4, off, s[0:3], 0 offset:40
	buffer_load_dword v5, off, s[0:3], 0 offset:44
	buffer_load_dword v6, off, s[0:3], 0 offset:36
	s_waitcnt vmcnt(2)
	v_mul_f32_e32 v7, v4, v0
	s_waitcnt vmcnt(1)
	v_mul_f32_e32 v1, v5, v0
	s_waitcnt vmcnt(0)
	v_fma_f32 v0, v5, v6, -v7
	v_fmac_f32_e32 v1, v4, v6
	ds_write_b64 v3, v[0:1] offset:16
.LBB0_9:
	s_or_b64 exec, exec, s[6:7]
	v_add_u32_e32 v0, 0x180, v2
	v_cmp_gt_u32_e64 s[4:5], s25, v0
	s_and_saveexec_b64 s[6:7], s[4:5]
	s_cbranch_execz .LBB0_11
; %bb.10:
	buffer_load_dword v0, off, s[0:3], 0 offset:48
	buffer_load_dword v4, off, s[0:3], 0 offset:56
	buffer_load_dword v5, off, s[0:3], 0 offset:60
	buffer_load_dword v6, off, s[0:3], 0 offset:52
	s_waitcnt vmcnt(2)
	v_mul_f32_e32 v7, v4, v0
	s_waitcnt vmcnt(1)
	v_mul_f32_e32 v1, v5, v0
	s_waitcnt vmcnt(0)
	v_fma_f32 v0, v5, v6, -v7
	v_fmac_f32_e32 v1, v4, v6
	ds_write_b64 v3, v[0:1] offset:24
.LBB0_11:
	s_or_b64 exec, exec, s[6:7]
	s_and_saveexec_b64 s[4:5], vcc
	s_xor_b64 s[4:5], exec, s[4:5]
	s_cbranch_execz .LBB0_14
; %bb.12:
	s_mov_b32 s8, 0
	s_mov_b64 s[6:7], 0
	v_mov_b32_e32 v1, 0
	v_mov_b32_e32 v4, s13
	;; [unrolled: 1-line block ×3, first 2 shown]
.LBB0_13:                               ; =>This Inner Loop Header: Depth=1
	v_add_u32_e32 v0, s24, v2
	s_add_i32 s4, s8, 1
	v_lshlrev_b64 v[8:9], 2, v[0:1]
	s_cmp_gt_u32 s8, 2
	s_mov_b32 s8, s4
	v_add_co_u32_e64 v10, s[4:5], s12, v8
	v_addc_co_u32_e64 v11, s[4:5], v4, v9, s[4:5]
	v_add_co_u32_e64 v8, s[4:5], s14, v8
	ds_read_b64 v[6:7], v3
	v_add_u32_e32 v2, 0x80, v2
	v_addc_co_u32_e64 v9, s[4:5], v5, v9, s[4:5]
	v_cmp_le_i32_e32 vcc, s25, v2
	s_cselect_b64 s[4:5], -1, 0
	s_or_b64 s[4:5], s[4:5], vcc
	s_and_b64 s[4:5], exec, s[4:5]
	v_add_u32_e32 v3, 8, v3
	s_or_b64 s[6:7], s[4:5], s[6:7]
	s_waitcnt lgkmcnt(0)
	global_store_dword v[10:11], v6, off
	global_store_dword v[8:9], v7, off
	s_andn2_b64 exec, exec, s[6:7]
	s_cbranch_execnz .LBB0_13
.LBB0_14:
	s_endpgm
	.section	.rodata,"a",@progbits
	.p2align	6, 0x0
	.amdhsa_kernel _Z45unrolled_elementwise_kernel_for_multi_outputsILi2EZ4mainEUlffffE_5ArrayIPcLi6EE23TrivialOffsetCalculatorILi4EjES4_ILi2EjEEviT0_T1_T2_T3_
		.amdhsa_group_segment_fixed_size 32768
		.amdhsa_private_segment_fixed_size 80
		.amdhsa_kernarg_size 60
		.amdhsa_user_sgpr_count 10
		.amdhsa_user_sgpr_private_segment_buffer 1
		.amdhsa_user_sgpr_dispatch_ptr 1
		.amdhsa_user_sgpr_queue_ptr 0
		.amdhsa_user_sgpr_kernarg_segment_ptr 1
		.amdhsa_user_sgpr_dispatch_id 0
		.amdhsa_user_sgpr_flat_scratch_init 1
		.amdhsa_user_sgpr_kernarg_preload_length 0
		.amdhsa_user_sgpr_kernarg_preload_offset 0
		.amdhsa_user_sgpr_private_segment_size 0
		.amdhsa_uses_dynamic_stack 0
		.amdhsa_system_sgpr_private_segment_wavefront_offset 1
		.amdhsa_system_sgpr_workgroup_id_x 1
		.amdhsa_system_sgpr_workgroup_id_y 0
		.amdhsa_system_sgpr_workgroup_id_z 0
		.amdhsa_system_sgpr_workgroup_info 0
		.amdhsa_system_vgpr_workitem_id 2
		.amdhsa_next_free_vgpr 21
		.amdhsa_next_free_sgpr 28
		.amdhsa_accum_offset 24
		.amdhsa_reserve_vcc 1
		.amdhsa_reserve_flat_scratch 0
		.amdhsa_float_round_mode_32 0
		.amdhsa_float_round_mode_16_64 0
		.amdhsa_float_denorm_mode_32 3
		.amdhsa_float_denorm_mode_16_64 3
		.amdhsa_dx10_clamp 1
		.amdhsa_ieee_mode 1
		.amdhsa_fp16_overflow 0
		.amdhsa_tg_split 0
		.amdhsa_exception_fp_ieee_invalid_op 0
		.amdhsa_exception_fp_denorm_src 0
		.amdhsa_exception_fp_ieee_div_zero 0
		.amdhsa_exception_fp_ieee_overflow 0
		.amdhsa_exception_fp_ieee_underflow 0
		.amdhsa_exception_fp_ieee_inexact 0
		.amdhsa_exception_int_div_zero 0
	.end_amdhsa_kernel
	.section	.text._Z45unrolled_elementwise_kernel_for_multi_outputsILi2EZ4mainEUlffffE_5ArrayIPcLi6EE23TrivialOffsetCalculatorILi4EjES4_ILi2EjEEviT0_T1_T2_T3_,"axG",@progbits,_Z45unrolled_elementwise_kernel_for_multi_outputsILi2EZ4mainEUlffffE_5ArrayIPcLi6EE23TrivialOffsetCalculatorILi4EjES4_ILi2EjEEviT0_T1_T2_T3_,comdat
.Lfunc_end0:
	.size	_Z45unrolled_elementwise_kernel_for_multi_outputsILi2EZ4mainEUlffffE_5ArrayIPcLi6EE23TrivialOffsetCalculatorILi4EjES4_ILi2EjEEviT0_T1_T2_T3_, .Lfunc_end0-_Z45unrolled_elementwise_kernel_for_multi_outputsILi2EZ4mainEUlffffE_5ArrayIPcLi6EE23TrivialOffsetCalculatorILi4EjES4_ILi2EjEEviT0_T1_T2_T3_
                                        ; -- End function
	.section	.AMDGPU.csdata,"",@progbits
; Kernel info:
; codeLenInByte = 1100
; NumSgprs: 32
; NumVgprs: 21
; NumAgprs: 0
; TotalNumVgprs: 21
; ScratchSize: 80
; MemoryBound: 0
; FloatMode: 240
; IeeeMode: 1
; LDSByteSize: 32768 bytes/workgroup (compile time only)
; SGPRBlocks: 3
; VGPRBlocks: 2
; NumSGPRsForWavesPerEU: 32
; NumVGPRsForWavesPerEU: 21
; AccumOffset: 24
; Occupancy: 8
; WaveLimiterHint : 0
; COMPUTE_PGM_RSRC2:SCRATCH_EN: 1
; COMPUTE_PGM_RSRC2:USER_SGPR: 10
; COMPUTE_PGM_RSRC2:TRAP_HANDLER: 0
; COMPUTE_PGM_RSRC2:TGID_X_EN: 1
; COMPUTE_PGM_RSRC2:TGID_Y_EN: 0
; COMPUTE_PGM_RSRC2:TGID_Z_EN: 0
; COMPUTE_PGM_RSRC2:TIDIG_COMP_CNT: 2
; COMPUTE_PGM_RSRC3_GFX90A:ACCUM_OFFSET: 5
; COMPUTE_PGM_RSRC3_GFX90A:TG_SPLIT: 0
	.text
	.p2alignl 6, 3212836864
	.fill 256, 4, 3212836864
	.type	__hip_cuid_8dfa3db68ba80856,@object ; @__hip_cuid_8dfa3db68ba80856
	.section	.bss,"aw",@nobits
	.globl	__hip_cuid_8dfa3db68ba80856
__hip_cuid_8dfa3db68ba80856:
	.byte	0                               ; 0x0
	.size	__hip_cuid_8dfa3db68ba80856, 1

	.ident	"AMD clang version 19.0.0git (https://github.com/RadeonOpenCompute/llvm-project roc-6.4.0 25133 c7fe45cf4b819c5991fe208aaa96edf142730f1d)"
	.section	".note.GNU-stack","",@progbits
	.addrsig
	.addrsig_sym __hip_cuid_8dfa3db68ba80856
	.amdgpu_metadata
---
amdhsa.kernels:
  - .agpr_count:     0
    .args:
      - .offset:         0
        .size:           4
        .value_kind:     by_value
      - .offset:         4
        .size:           1
        .value_kind:     by_value
      - .offset:         8
        .size:           48
        .value_kind:     by_value
      - .offset:         56
        .size:           1
        .value_kind:     by_value
      - .offset:         57
        .size:           1
        .value_kind:     by_value
    .group_segment_fixed_size: 32768
    .kernarg_segment_align: 8
    .kernarg_segment_size: 60
    .language:       OpenCL C
    .language_version:
      - 2
      - 0
    .max_flat_workgroup_size: 1024
    .name:           _Z45unrolled_elementwise_kernel_for_multi_outputsILi2EZ4mainEUlffffE_5ArrayIPcLi6EE23TrivialOffsetCalculatorILi4EjES4_ILi2EjEEviT0_T1_T2_T3_
    .private_segment_fixed_size: 80
    .sgpr_count:     32
    .sgpr_spill_count: 0
    .symbol:         _Z45unrolled_elementwise_kernel_for_multi_outputsILi2EZ4mainEUlffffE_5ArrayIPcLi6EE23TrivialOffsetCalculatorILi4EjES4_ILi2EjEEviT0_T1_T2_T3_.kd
    .uniform_work_group_size: 1
    .uses_dynamic_stack: false
    .vgpr_count:     21
    .vgpr_spill_count: 0
    .wavefront_size: 64
amdhsa.target:   amdgcn-amd-amdhsa--gfx90a
amdhsa.version:
  - 1
  - 2
...

	.end_amdgpu_metadata
